;; amdgpu-corpus repo=ROCm/rocFFT kind=compiled arch=gfx1030 opt=O3
	.text
	.amdgcn_target "amdgcn-amd-amdhsa--gfx1030"
	.amdhsa_code_object_version 6
	.protected	fft_rtc_fwd_len1560_factors_13_2_2_10_3_wgs_156_tpt_156_half_ip_CI_sbrr_dirReg ; -- Begin function fft_rtc_fwd_len1560_factors_13_2_2_10_3_wgs_156_tpt_156_half_ip_CI_sbrr_dirReg
	.globl	fft_rtc_fwd_len1560_factors_13_2_2_10_3_wgs_156_tpt_156_half_ip_CI_sbrr_dirReg
	.p2align	8
	.type	fft_rtc_fwd_len1560_factors_13_2_2_10_3_wgs_156_tpt_156_half_ip_CI_sbrr_dirReg,@function
fft_rtc_fwd_len1560_factors_13_2_2_10_3_wgs_156_tpt_156_half_ip_CI_sbrr_dirReg: ; @fft_rtc_fwd_len1560_factors_13_2_2_10_3_wgs_156_tpt_156_half_ip_CI_sbrr_dirReg
; %bb.0:
	s_clause 0x2
	s_load_dwordx2 s[14:15], s[4:5], 0x18
	s_load_dwordx4 s[8:11], s[4:5], 0x0
	s_load_dwordx2 s[12:13], s[4:5], 0x50
	v_mul_u32_u24_e32 v1, 0x1a5, v0
	v_mov_b32_e32 v3, 0
	v_add_nc_u32_sdwa v5, s6, v1 dst_sel:DWORD dst_unused:UNUSED_PAD src0_sel:DWORD src1_sel:WORD_1
	v_mov_b32_e32 v1, 0
	v_mov_b32_e32 v6, v3
	v_mov_b32_e32 v2, 0
	s_waitcnt lgkmcnt(0)
	s_load_dwordx2 s[2:3], s[14:15], 0x0
	v_cmp_lt_u64_e64 s0, s[10:11], 2
	s_and_b32 vcc_lo, exec_lo, s0
	s_cbranch_vccnz .LBB0_8
; %bb.1:
	s_load_dwordx2 s[0:1], s[4:5], 0x10
	v_mov_b32_e32 v1, 0
	s_add_u32 s6, s14, 8
	v_mov_b32_e32 v2, 0
	s_addc_u32 s7, s15, 0
	s_mov_b64 s[18:19], 1
	s_waitcnt lgkmcnt(0)
	s_add_u32 s16, s0, 8
	s_addc_u32 s17, s1, 0
.LBB0_2:                                ; =>This Inner Loop Header: Depth=1
	s_load_dwordx2 s[20:21], s[16:17], 0x0
                                        ; implicit-def: $vgpr7_vgpr8
	s_mov_b32 s0, exec_lo
	s_waitcnt lgkmcnt(0)
	v_or_b32_e32 v4, s21, v6
	v_cmpx_ne_u64_e32 0, v[3:4]
	s_xor_b32 s1, exec_lo, s0
	s_cbranch_execz .LBB0_4
; %bb.3:                                ;   in Loop: Header=BB0_2 Depth=1
	v_cvt_f32_u32_e32 v4, s20
	v_cvt_f32_u32_e32 v7, s21
	s_sub_u32 s0, 0, s20
	s_subb_u32 s22, 0, s21
	v_fmac_f32_e32 v4, 0x4f800000, v7
	v_rcp_f32_e32 v4, v4
	v_mul_f32_e32 v4, 0x5f7ffffc, v4
	v_mul_f32_e32 v7, 0x2f800000, v4
	v_trunc_f32_e32 v7, v7
	v_fmac_f32_e32 v4, 0xcf800000, v7
	v_cvt_u32_f32_e32 v7, v7
	v_cvt_u32_f32_e32 v4, v4
	v_mul_lo_u32 v8, s0, v7
	v_mul_hi_u32 v9, s0, v4
	v_mul_lo_u32 v10, s22, v4
	v_add_nc_u32_e32 v8, v9, v8
	v_mul_lo_u32 v9, s0, v4
	v_add_nc_u32_e32 v8, v8, v10
	v_mul_hi_u32 v10, v4, v9
	v_mul_lo_u32 v11, v4, v8
	v_mul_hi_u32 v12, v4, v8
	v_mul_hi_u32 v13, v7, v9
	v_mul_lo_u32 v9, v7, v9
	v_mul_hi_u32 v14, v7, v8
	v_mul_lo_u32 v8, v7, v8
	v_add_co_u32 v10, vcc_lo, v10, v11
	v_add_co_ci_u32_e32 v11, vcc_lo, 0, v12, vcc_lo
	v_add_co_u32 v9, vcc_lo, v10, v9
	v_add_co_ci_u32_e32 v9, vcc_lo, v11, v13, vcc_lo
	v_add_co_ci_u32_e32 v10, vcc_lo, 0, v14, vcc_lo
	v_add_co_u32 v8, vcc_lo, v9, v8
	v_add_co_ci_u32_e32 v9, vcc_lo, 0, v10, vcc_lo
	v_add_co_u32 v4, vcc_lo, v4, v8
	v_add_co_ci_u32_e32 v7, vcc_lo, v7, v9, vcc_lo
	v_mul_hi_u32 v8, s0, v4
	v_mul_lo_u32 v10, s22, v4
	v_mul_lo_u32 v9, s0, v7
	v_add_nc_u32_e32 v8, v8, v9
	v_mul_lo_u32 v9, s0, v4
	v_add_nc_u32_e32 v8, v8, v10
	v_mul_hi_u32 v10, v4, v9
	v_mul_lo_u32 v11, v4, v8
	v_mul_hi_u32 v12, v4, v8
	v_mul_hi_u32 v13, v7, v9
	v_mul_lo_u32 v9, v7, v9
	v_mul_hi_u32 v14, v7, v8
	v_mul_lo_u32 v8, v7, v8
	v_add_co_u32 v10, vcc_lo, v10, v11
	v_add_co_ci_u32_e32 v11, vcc_lo, 0, v12, vcc_lo
	v_add_co_u32 v9, vcc_lo, v10, v9
	v_add_co_ci_u32_e32 v9, vcc_lo, v11, v13, vcc_lo
	v_add_co_ci_u32_e32 v10, vcc_lo, 0, v14, vcc_lo
	v_add_co_u32 v8, vcc_lo, v9, v8
	v_add_co_ci_u32_e32 v9, vcc_lo, 0, v10, vcc_lo
	v_add_co_u32 v4, vcc_lo, v4, v8
	v_add_co_ci_u32_e32 v11, vcc_lo, v7, v9, vcc_lo
	v_mul_hi_u32 v13, v5, v4
	v_mad_u64_u32 v[9:10], null, v6, v4, 0
	v_mad_u64_u32 v[7:8], null, v5, v11, 0
	;; [unrolled: 1-line block ×3, first 2 shown]
	v_add_co_u32 v4, vcc_lo, v13, v7
	v_add_co_ci_u32_e32 v7, vcc_lo, 0, v8, vcc_lo
	v_add_co_u32 v4, vcc_lo, v4, v9
	v_add_co_ci_u32_e32 v4, vcc_lo, v7, v10, vcc_lo
	v_add_co_ci_u32_e32 v7, vcc_lo, 0, v12, vcc_lo
	v_add_co_u32 v4, vcc_lo, v4, v11
	v_add_co_ci_u32_e32 v9, vcc_lo, 0, v7, vcc_lo
	v_mul_lo_u32 v10, s21, v4
	v_mad_u64_u32 v[7:8], null, s20, v4, 0
	v_mul_lo_u32 v11, s20, v9
	v_sub_co_u32 v7, vcc_lo, v5, v7
	v_add3_u32 v8, v8, v11, v10
	v_sub_nc_u32_e32 v10, v6, v8
	v_subrev_co_ci_u32_e64 v10, s0, s21, v10, vcc_lo
	v_add_co_u32 v11, s0, v4, 2
	v_add_co_ci_u32_e64 v12, s0, 0, v9, s0
	v_sub_co_u32 v13, s0, v7, s20
	v_sub_co_ci_u32_e32 v8, vcc_lo, v6, v8, vcc_lo
	v_subrev_co_ci_u32_e64 v10, s0, 0, v10, s0
	v_cmp_le_u32_e32 vcc_lo, s20, v13
	v_cmp_eq_u32_e64 s0, s21, v8
	v_cndmask_b32_e64 v13, 0, -1, vcc_lo
	v_cmp_le_u32_e32 vcc_lo, s21, v10
	v_cndmask_b32_e64 v14, 0, -1, vcc_lo
	v_cmp_le_u32_e32 vcc_lo, s20, v7
	;; [unrolled: 2-line block ×3, first 2 shown]
	v_cndmask_b32_e64 v15, 0, -1, vcc_lo
	v_cmp_eq_u32_e32 vcc_lo, s21, v10
	v_cndmask_b32_e64 v7, v15, v7, s0
	v_cndmask_b32_e32 v10, v14, v13, vcc_lo
	v_add_co_u32 v13, vcc_lo, v4, 1
	v_add_co_ci_u32_e32 v14, vcc_lo, 0, v9, vcc_lo
	v_cmp_ne_u32_e32 vcc_lo, 0, v10
	v_cndmask_b32_e32 v8, v14, v12, vcc_lo
	v_cndmask_b32_e32 v10, v13, v11, vcc_lo
	v_cmp_ne_u32_e32 vcc_lo, 0, v7
	v_cndmask_b32_e32 v8, v9, v8, vcc_lo
	v_cndmask_b32_e32 v7, v4, v10, vcc_lo
.LBB0_4:                                ;   in Loop: Header=BB0_2 Depth=1
	s_andn2_saveexec_b32 s0, s1
	s_cbranch_execz .LBB0_6
; %bb.5:                                ;   in Loop: Header=BB0_2 Depth=1
	v_cvt_f32_u32_e32 v4, s20
	s_sub_i32 s1, 0, s20
	v_rcp_iflag_f32_e32 v4, v4
	v_mul_f32_e32 v4, 0x4f7ffffe, v4
	v_cvt_u32_f32_e32 v4, v4
	v_mul_lo_u32 v7, s1, v4
	v_mul_hi_u32 v7, v4, v7
	v_add_nc_u32_e32 v4, v4, v7
	v_mul_hi_u32 v4, v5, v4
	v_mul_lo_u32 v7, v4, s20
	v_add_nc_u32_e32 v8, 1, v4
	v_sub_nc_u32_e32 v7, v5, v7
	v_subrev_nc_u32_e32 v9, s20, v7
	v_cmp_le_u32_e32 vcc_lo, s20, v7
	v_cndmask_b32_e32 v7, v7, v9, vcc_lo
	v_cndmask_b32_e32 v4, v4, v8, vcc_lo
	v_cmp_le_u32_e32 vcc_lo, s20, v7
	v_add_nc_u32_e32 v8, 1, v4
	v_cndmask_b32_e32 v7, v4, v8, vcc_lo
	v_mov_b32_e32 v8, v3
.LBB0_6:                                ;   in Loop: Header=BB0_2 Depth=1
	s_or_b32 exec_lo, exec_lo, s0
	s_load_dwordx2 s[0:1], s[6:7], 0x0
	v_mul_lo_u32 v4, v8, s20
	v_mul_lo_u32 v11, v7, s21
	v_mad_u64_u32 v[9:10], null, v7, s20, 0
	s_add_u32 s18, s18, 1
	s_addc_u32 s19, s19, 0
	s_add_u32 s6, s6, 8
	s_addc_u32 s7, s7, 0
	;; [unrolled: 2-line block ×3, first 2 shown]
	v_add3_u32 v4, v10, v11, v4
	v_sub_co_u32 v5, vcc_lo, v5, v9
	v_sub_co_ci_u32_e32 v4, vcc_lo, v6, v4, vcc_lo
	s_waitcnt lgkmcnt(0)
	v_mul_lo_u32 v6, s1, v5
	v_mul_lo_u32 v4, s0, v4
	v_mad_u64_u32 v[1:2], null, s0, v5, v[1:2]
	v_cmp_ge_u64_e64 s0, s[18:19], s[10:11]
	s_and_b32 vcc_lo, exec_lo, s0
	v_add3_u32 v2, v6, v2, v4
	s_cbranch_vccnz .LBB0_9
; %bb.7:                                ;   in Loop: Header=BB0_2 Depth=1
	v_mov_b32_e32 v5, v7
	v_mov_b32_e32 v6, v8
	s_branch .LBB0_2
.LBB0_8:
	v_mov_b32_e32 v8, v6
	v_mov_b32_e32 v7, v5
.LBB0_9:
	s_lshl_b64 s[0:1], s[10:11], 3
	v_mul_hi_u32 v3, 0x1a41a42, v0
	s_add_u32 s0, s14, s0
	s_addc_u32 s1, s15, s1
	v_mov_b32_e32 v11, 0
	s_load_dwordx2 s[0:1], s[0:1], 0x0
	s_load_dwordx2 s[4:5], s[4:5], 0x20
                                        ; implicit-def: $vgpr32
                                        ; implicit-def: $vgpr9
                                        ; implicit-def: $vgpr31
                                        ; implicit-def: $vgpr30
                                        ; implicit-def: $vgpr29
                                        ; implicit-def: $vgpr6
                                        ; implicit-def: $vgpr28
                                        ; implicit-def: $vgpr27
                                        ; implicit-def: $vgpr26
                                        ; implicit-def: $vgpr24
                                        ; implicit-def: $vgpr19
                                        ; implicit-def: $vgpr23
                                        ; implicit-def: $vgpr18
                                        ; implicit-def: $vgpr21
                                        ; implicit-def: $vgpr10
                                        ; implicit-def: $vgpr22
                                        ; implicit-def: $vgpr17
                                        ; implicit-def: $vgpr25
                                        ; implicit-def: $vgpr20
	v_mul_u32_u24_e32 v3, 0x9c, v3
	v_sub_nc_u32_e32 v12, v0, v3
                                        ; implicit-def: $vgpr3
	s_waitcnt lgkmcnt(0)
	v_mul_lo_u32 v4, s0, v8
	v_mul_lo_u32 v5, s1, v7
	v_mad_u64_u32 v[1:2], null, s0, v7, v[1:2]
	v_cmp_gt_u64_e32 vcc_lo, s[4:5], v[7:8]
	v_cmp_gt_u32_e64 s0, 0x78, v12
                                        ; implicit-def: $vgpr8
                                        ; implicit-def: $vgpr7
	s_and_b32 s1, vcc_lo, s0
	v_add3_u32 v2, v5, v2, v4
                                        ; implicit-def: $vgpr5
                                        ; implicit-def: $vgpr4
	v_lshlrev_b64 v[0:1], 2, v[1:2]
	v_mov_b32_e32 v2, 0
	s_and_saveexec_b32 s4, s1
	s_cbranch_execz .LBB0_11
; %bb.10:
	v_add_nc_u32_e32 v9, 0x78, v12
	v_mad_u64_u32 v[2:3], null, s2, v12, 0
	v_add_nc_u32_e32 v11, 0xf0, v12
	v_add_nc_u32_e32 v16, 0x168, v12
	v_mad_u64_u32 v[4:5], null, s2, v9, 0
	v_add_nc_u32_e32 v17, 0x1e0, v12
	v_add_co_u32 v34, s1, s12, v0
	v_add_co_ci_u32_e64 v35, s1, s13, v1, s1
	v_add_nc_u32_e32 v24, 0x2d0, v12
	v_mad_u64_u32 v[6:7], null, s3, v12, v[3:4]
	v_mov_b32_e32 v3, v5
	v_mad_u64_u32 v[7:8], null, s2, v11, 0
	v_add_nc_u32_e32 v25, 0x348, v12
	v_mad_u64_u32 v[18:19], null, s2, v24, 0
	v_mad_u64_u32 v[9:10], null, s3, v9, v[3:4]
	v_mov_b32_e32 v3, v6
	v_mov_b32_e32 v6, v8
	v_mad_u64_u32 v[20:21], null, s2, v25, 0
	v_add_nc_u32_e32 v29, 0x438, v12
	v_lshlrev_b64 v[2:3], 2, v[2:3]
	v_mov_b32_e32 v5, v9
	v_mad_u64_u32 v[9:10], null, s2, v16, 0
	v_mad_u64_u32 v[13:14], null, s3, v11, v[6:7]
	;; [unrolled: 1-line block ×3, first 2 shown]
	v_lshlrev_b64 v[4:5], 2, v[4:5]
	v_add_co_u32 v2, s1, v34, v2
	v_mov_b32_e32 v6, v10
	v_mov_b32_e32 v8, v13
	v_add_co_ci_u32_e64 v3, s1, v35, v3, s1
	v_add_co_u32 v4, s1, v34, v4
	v_mad_u64_u32 v[10:11], null, s3, v16, v[6:7]
	v_lshlrev_b64 v[7:8], 2, v[7:8]
	v_mov_b32_e32 v6, v15
	v_add_nc_u32_e32 v11, 0x258, v12
	v_add_co_ci_u32_e64 v5, s1, v35, v5, s1
	v_add_nc_u32_e32 v30, 0x4b0, v12
	v_mad_u64_u32 v[15:16], null, s3, v17, v[6:7]
	v_mad_u64_u32 v[16:17], null, s2, v11, 0
	v_add_co_u32 v6, s1, v34, v7
	v_add_co_ci_u32_e64 v7, s1, v35, v8, s1
	v_lshlrev_b64 v[8:9], 2, v[9:10]
	v_lshlrev_b64 v[13:14], 2, v[14:15]
	v_mov_b32_e32 v10, v17
	v_add_co_u32 v22, s1, v34, v8
	v_mad_u64_u32 v[10:11], null, s3, v11, v[10:11]
	v_add_co_ci_u32_e64 v23, s1, v35, v9, s1
	v_mov_b32_e32 v8, v19
	v_mov_b32_e32 v9, v21
	v_add_co_u32 v13, s1, v34, v13
	v_mov_b32_e32 v17, v10
	v_add_co_ci_u32_e64 v14, s1, v35, v14, s1
	v_mad_u64_u32 v[10:11], null, s3, v24, v[8:9]
	v_add_nc_u32_e32 v24, 0x3c0, v12
	v_lshlrev_b64 v[15:16], 2, v[16:17]
	v_mad_u64_u32 v[8:9], null, s3, v25, v[9:10]
	v_mov_b32_e32 v19, v10
	v_mad_u64_u32 v[10:11], null, s2, v24, 0
	v_add_co_u32 v15, s1, v34, v15
	v_add_co_ci_u32_e64 v16, s1, v35, v16, s1
	v_mov_b32_e32 v21, v8
	v_lshlrev_b64 v[8:9], 2, v[18:19]
	v_mad_u64_u32 v[24:25], null, s3, v24, v[11:12]
	v_mad_u64_u32 v[25:26], null, s2, v30, 0
	v_lshlrev_b64 v[17:18], 2, v[20:21]
	v_mad_u64_u32 v[19:20], null, s2, v29, 0
	v_add_co_u32 v27, s1, v34, v8
	v_add_co_ci_u32_e64 v28, s1, v35, v9, s1
	v_mov_b32_e32 v9, v26
	v_mov_b32_e32 v11, v24
	v_mov_b32_e32 v8, v20
	v_add_nc_u32_e32 v24, 0x5a0, v12
	v_add_co_u32 v17, s1, v34, v17
	v_add_co_ci_u32_e64 v18, s1, v35, v18, s1
	v_mad_u64_u32 v[20:21], null, s3, v29, v[8:9]
	v_add_nc_u32_e32 v21, 0x528, v12
	v_mad_u64_u32 v[29:30], null, s3, v30, v[9:10]
	v_mad_u64_u32 v[32:33], null, s2, v24, 0
	;; [unrolled: 1-line block ×3, first 2 shown]
	s_clause 0x7
	global_load_dword v2, v[2:3], off
	global_load_dword v9, v[4:5], off
	;; [unrolled: 1-line block ×8, first 2 shown]
	v_lshlrev_b64 v[15:16], 2, v[19:20]
	v_lshlrev_b64 v[10:11], 2, v[10:11]
	v_mov_b32_e32 v26, v29
	v_mov_b32_e32 v13, v31
	v_add_co_u32 v10, s1, v34, v10
	v_add_co_ci_u32_e64 v11, s1, v35, v11, s1
	v_mad_u64_u32 v[13:14], null, s3, v21, v[13:14]
	v_mov_b32_e32 v14, v33
	v_mad_u64_u32 v[17:18], null, s3, v24, v[14:15]
	v_mov_b32_e32 v31, v13
	v_lshlrev_b64 v[18:19], 2, v[25:26]
	v_add_co_u32 v13, s1, v34, v15
	v_add_co_ci_u32_e64 v14, s1, v35, v16, s1
	v_mov_b32_e32 v33, v17
	v_lshlrev_b64 v[15:16], 2, v[30:31]
	v_add_co_u32 v20, s1, v34, v18
	v_add_co_ci_u32_e64 v21, s1, v35, v19, s1
	v_lshlrev_b64 v[17:18], 2, v[32:33]
	v_add_co_u32 v15, s1, v34, v15
	v_add_co_ci_u32_e64 v16, s1, v35, v16, s1
	v_add_co_u32 v22, s1, v34, v17
	v_add_co_ci_u32_e64 v23, s1, v35, v18, s1
	s_clause 0x4
	global_load_dword v19, v[10:11], off
	global_load_dword v18, v[13:14], off
	;; [unrolled: 1-line block ×5, first 2 shown]
	s_waitcnt vmcnt(12)
	v_lshrrev_b32_e32 v11, 16, v2
	s_waitcnt vmcnt(11)
	v_lshrrev_b32_e32 v32, 16, v9
	;; [unrolled: 2-line block ×13, first 2 shown]
.LBB0_11:
	s_or_b32 exec_lo, exec_lo, s4
	v_add_f16_e32 v44, v9, v10
	v_sub_f16_e32 v49, v9, v10
	v_sub_f16_e32 v33, v32, v21
	v_add_f16_e32 v45, v8, v17
	v_add_f16_e32 v34, v32, v21
	v_mul_f16_e32 v53, 0x388b, v44
	v_mul_f16_e32 v57, 0xba95, v49
	v_sub_f16_e32 v51, v8, v17
	v_mul_f16_e32 v64, 0x2fb7, v44
	v_sub_f16_e32 v35, v31, v22
	v_fmamk_f16 v13, v33, 0xba95, v53
	v_mul_f16_e32 v56, 0xb5ac, v45
	v_fma_f16 v14, v34, 0x388b, -v57
	v_mul_f16_e32 v71, 0xbbf1, v49
	v_fmamk_f16 v15, v33, 0xbbf1, v64
	v_add_f16_e32 v13, v2, v13
	v_add_f16_e32 v36, v31, v22
	v_mul_f16_e32 v60, 0xbb7b, v51
	v_mul_f16_e32 v65, 0xbbc4, v45
	v_fmamk_f16 v37, v35, 0xbb7b, v56
	v_add_f16_e32 v50, v7, v20
	v_add_f16_e32 v14, v11, v14
	v_fma_f16 v16, v34, 0x2fb7, -v71
	v_add_f16_e32 v15, v2, v15
	v_fma_f16 v38, v36, 0xb5ac, -v60
	v_fmamk_f16 v39, v35, 0xb3a8, v65
	v_add_f16_e32 v13, v13, v37
	v_mul_f16_e32 v73, 0xb3a8, v51
	v_sub_f16_e32 v54, v7, v20
	v_sub_f16_e32 v37, v30, v25
	v_mul_f16_e32 v59, 0xbbc4, v50
	v_add_f16_e32 v16, v11, v16
	v_add_f16_e32 v14, v14, v38
	;; [unrolled: 1-line block ×3, first 2 shown]
	v_fma_f16 v39, v36, 0xbbc4, -v73
	v_add_f16_e32 v38, v30, v25
	v_mul_f16_e32 v61, 0xb3a8, v54
	v_fmamk_f16 v41, v37, 0xb3a8, v59
	v_add_f16_e32 v42, v6, v18
	v_mul_f16_e32 v78, 0x3b7b, v54
	v_sub_f16_e32 v58, v6, v18
	v_add_f16_e32 v16, v16, v39
	v_mul_f16_e32 v70, 0xb5ac, v50
	v_fma_f16 v43, v38, 0xbbc4, -v61
	v_sub_f16_e32 v39, v29, v23
	v_mul_f16_e32 v63, 0xb9fd, v42
	v_add_f16_e32 v40, v29, v23
	v_mul_f16_e32 v66, 0x394e, v58
	v_add_f16_e32 v13, v13, v41
	v_fma_f16 v41, v38, 0xb5ac, -v78
	v_add_f16_e32 v48, v5, v19
	v_fmamk_f16 v46, v37, 0x3b7b, v70
	v_add_f16_e32 v14, v14, v43
	v_fmamk_f16 v43, v39, 0x394e, v63
	v_fma_f16 v47, v40, 0xb9fd, -v66
	v_mul_f16_e32 v74, 0x3b15, v42
	v_add_f16_e32 v16, v16, v41
	v_sub_f16_e32 v62, v5, v19
	v_mul_f16_e32 v79, 0x3770, v58
	v_sub_f16_e32 v41, v28, v24
	v_mul_f16_e32 v67, 0x2fb7, v48
	v_add_f16_e32 v15, v15, v46
	v_add_f16_e32 v13, v43, v13
	;; [unrolled: 1-line block ×3, first 2 shown]
	v_fmamk_f16 v46, v39, 0x3770, v74
	v_add_f16_e32 v43, v28, v24
	v_mul_f16_e32 v72, 0x3bf1, v62
	v_fma_f16 v47, v40, 0x3b15, -v79
	v_mul_f16_e32 v75, 0x388b, v48
	v_fmamk_f16 v52, v41, 0x3bf1, v67
	v_add_f16_e32 v15, v46, v15
	v_fma_f16 v46, v43, 0x2fb7, -v72
	v_add_f16_e32 v16, v47, v16
	v_fmamk_f16 v47, v41, 0xba95, v75
	v_add_f16_e32 v13, v52, v13
	v_mul_f16_e32 v81, 0xba95, v62
	v_add_f16_e32 v52, v4, v3
	v_sub_f16_e32 v55, v4, v3
	v_add_f16_e32 v14, v46, v14
	v_add_f16_e32 v15, v47, v15
	v_fma_f16 v68, v43, 0x388b, -v81
	v_sub_f16_e32 v46, v27, v26
	v_mul_f16_e32 v69, 0x3b15, v52
	v_add_f16_e32 v47, v27, v26
	v_mul_f16_e32 v76, 0x3770, v55
	v_mul_f16_e32 v77, 0xb9fd, v52
	;; [unrolled: 1-line block ×3, first 2 shown]
	v_add_f16_e32 v16, v68, v16
	v_fmamk_f16 v68, v46, 0x3770, v69
	v_fma_f16 v82, v47, 0x3b15, -v76
	v_fmamk_f16 v83, v46, 0xb94e, v77
	v_fma_f16 v84, v47, 0xb9fd, -v80
	v_add_f16_e32 v13, v68, v13
	v_add_f16_e32 v14, v82, v14
	;; [unrolled: 1-line block ×4, first 2 shown]
	s_and_saveexec_b32 s1, s0
	s_cbranch_execz .LBB0_13
; %bb.12:
	v_mul_f16_e32 v82, 0xbb7b, v49
	v_mul_f16_e32 v83, 0xbb7b, v33
	v_mul_f16_e32 v84, 0x394e, v51
	v_mul_f16_e32 v86, 0x394e, v35
	v_mul_f16_e32 v85, 0x3770, v54
	v_fma_f16 v68, v34, 0xb5ac, -v82
	v_fmamk_f16 v89, v44, 0xb5ac, v83
	v_mul_f16_e32 v87, 0x3770, v37
	v_fma_f16 v90, v36, 0xb9fd, -v84
	v_fmamk_f16 v92, v45, 0xb9fd, v86
	v_add_f16_e32 v68, v11, v68
	v_add_f16_e32 v89, v2, v89
	v_mul_f16_e32 v88, 0xbbf1, v58
	v_mul_f16_e32 v91, 0xbbf1, v39
	v_fma_f16 v93, v38, 0x3b15, -v85
	v_add_f16_e32 v68, v68, v90
	v_fmamk_f16 v94, v50, 0x3b15, v87
	v_add_f16_e32 v89, v89, v92
	v_mul_f16_e32 v90, 0x33a8, v62
	v_fma_f16 v95, v40, 0x2fb7, -v88
	v_add_f16_e32 v68, v68, v93
	v_fmamk_f16 v93, v42, 0x2fb7, v91
	v_add_f16_e32 v89, v89, v94
	v_mul_f16_e32 v94, 0x33a8, v41
	v_fma_f16 v96, v43, 0xbbc4, -v90
	v_add_f16_e32 v68, v95, v68
	v_mul_f16_e32 v101, 0x3a95, v46
	v_add_f16_e32 v89, v93, v89
	v_mul_f16_e32 v93, 0x3a95, v55
	v_fmamk_f16 v99, v48, 0xbbc4, v94
	v_add_f16_e32 v68, v96, v68
	v_mul_f16_e32 v92, 0xb94e, v49
	v_mul_f16_e32 v105, 0x3bf1, v35
	v_fma_f16 v100, v47, 0x388b, -v93
	v_add_f16_e32 v89, v99, v89
	v_mul_f16_e32 v99, 0xb94e, v33
	v_fma_f16 v95, v34, 0xb9fd, -v92
	v_mul_f16_e32 v97, 0x3bf1, v51
	v_add_f16_e32 v68, v100, v68
	v_fmamk_f16 v100, v52, 0x388b, v101
	v_fmamk_f16 v104, v44, 0xb9fd, v99
	v_mul_f16_e32 v106, 0xba95, v37
	v_fmac_f16_e32 v92, 0xb9fd, v34
	v_fma_f16 v99, v44, 0xb9fd, -v99
	v_add_f16_e32 v89, v100, v89
	v_add_f16_e32 v100, v2, v104
	v_fmamk_f16 v104, v45, 0x2fb7, v105
	v_add_f16_e32 v95, v11, v95
	v_fma_f16 v96, v36, 0x2fb7, -v97
	v_mul_f16_e32 v98, 0xba95, v54
	v_mul_f16_e32 v108, 0x33a8, v39
	v_add_f16_e32 v100, v100, v104
	v_fmamk_f16 v104, v50, 0x388b, v106
	v_add_f16_e32 v92, v11, v92
	v_fmac_f16_e32 v97, 0x2fb7, v36
	v_add_f16_e32 v99, v2, v99
	v_fma_f16 v105, v45, 0x2fb7, -v105
	v_add_f16_e32 v95, v95, v96
	v_fma_f16 v96, v38, 0x388b, -v98
	v_add_f16_e32 v100, v100, v104
	v_fmamk_f16 v104, v42, 0xbbc4, v108
	v_mul_f16_e32 v112, 0x3770, v41
	v_add_f16_e32 v92, v92, v97
	v_fmac_f16_e32 v98, 0x388b, v38
	v_fmac_f16_e32 v82, 0xb5ac, v34
	v_add_f16_e32 v99, v99, v105
	v_fma_f16 v105, v50, 0x388b, -v106
	v_add_f16_e32 v100, v104, v100
	v_fmamk_f16 v104, v48, 0x3b15, v112
	v_add_f16_e32 v92, v92, v98
	v_add_f16_e32 v82, v11, v82
	v_fmac_f16_e32 v84, 0xb9fd, v36
	v_add_f16_e32 v98, v99, v105
	v_fma_f16 v99, v42, 0xbbc4, -v108
	v_add_f16_e32 v100, v104, v100
	v_mul_f16_e32 v104, 0xbb7b, v46
	v_add_f16_e32 v82, v82, v84
	v_fmac_f16_e32 v85, 0x3b15, v38
	v_add_f16_e32 v84, v99, v98
	v_fma_f16 v98, v48, 0x3b15, -v112
	v_fma_f16 v83, v44, 0xb5ac, -v83
	v_fmac_f16_e32 v88, 0x2fb7, v40
	v_add_f16_e32 v82, v82, v85
	v_fma_f16 v85, v52, 0xb5ac, -v104
	v_add_f16_e32 v84, v98, v84
	v_add_f16_e32 v83, v2, v83
	v_fma_f16 v86, v45, 0xb9fd, -v86
	v_add_f16_e32 v82, v88, v82
	v_mul_f16_e32 v88, 0xbbc4, v36
	v_add_f16_e32 v84, v85, v84
	v_mul_f16_e32 v85, 0x2fb7, v34
	;; [unrolled: 2-line block ×4, first 2 shown]
	v_add_f16_e32 v71, v85, v71
	v_fma_f16 v85, v50, 0x3b15, -v87
	v_add_f16_e32 v95, v95, v96
	v_mul_f16_e32 v103, 0x3770, v62
	v_fma_f16 v96, v40, 0xbbc4, -v102
	v_add_f16_e32 v71, v11, v71
	v_add_f16_e32 v83, v83, v85
	v_fma_f16 v85, v42, 0x2fb7, -v91
	v_mul_f16_e32 v115, 0xb3a8, v33
	v_add_f16_e32 v95, v96, v95
	v_add_f16_e32 v71, v71, v73
	;; [unrolled: 1-line block ×3, first 2 shown]
	v_mul_f16_e32 v78, 0x3b15, v40
	v_mul_f16_e32 v86, 0xbbf1, v33
	v_add_f16_e32 v83, v85, v83
	v_fma_f16 v85, v48, 0xbbc4, -v94
	v_add_f16_e32 v71, v71, v73
	v_add_f16_e32 v73, v78, v79
	v_sub_f16_e32 v64, v64, v86
	v_mul_f16_e32 v78, 0xb3a8, v35
	v_add_f16_e32 v79, v85, v83
	v_mul_f16_e32 v83, 0x388b, v43
	v_add_f16_e32 v71, v73, v71
	v_add_f16_e32 v64, v2, v64
	v_sub_f16_e32 v65, v65, v78
	v_mul_f16_e32 v78, 0x3b7b, v37
	v_add_f16_e32 v81, v83, v81
	v_mul_f16_e32 v83, 0x388b, v34
	v_mul_f16_e32 v73, 0xba95, v33
	v_add_f16_e32 v64, v64, v65
	v_sub_f16_e32 v70, v70, v78
	v_mul_f16_e32 v78, 0xb5ac, v36
	v_add_f16_e32 v57, v83, v57
	v_add_f16_e32 v71, v81, v71
	v_mul_f16_e32 v81, 0x3770, v39
	v_add_f16_e32 v64, v64, v70
	v_mul_f16_e32 v70, 0xbbc4, v38
	v_add_f16_e32 v60, v78, v60
	v_add_f16_e32 v57, v11, v57
	v_fma_f16 v85, v52, 0x388b, -v101
	v_mul_f16_e32 v65, 0xbb7b, v35
	v_sub_f16_e32 v74, v74, v81
	v_mul_f16_e32 v78, 0xb9fd, v40
	v_add_f16_e32 v57, v57, v60
	v_sub_f16_e32 v53, v53, v73
	v_add_f16_e32 v61, v70, v61
	v_fma_f16 v96, v43, 0x3b15, -v103
	v_fmamk_f16 v117, v52, 0xb5ac, v104
	v_fmamk_f16 v118, v44, 0xbbc4, v115
	v_mul_f16_e32 v119, 0x3770, v35
	v_add_f16_e32 v79, v85, v79
	v_mul_f16_e32 v85, 0xb3a8, v37
	v_add_f16_e32 v64, v74, v64
	;; [unrolled: 2-line block ×3, first 2 shown]
	v_sub_f16_e32 v56, v56, v65
	v_add_f16_e32 v57, v57, v61
	v_add_f16_e32 v61, v78, v66
	;; [unrolled: 1-line block ×3, first 2 shown]
	v_mul_f16_e32 v96, 0xb3a8, v49
	v_add_f16_e32 v100, v117, v100
	v_add_f16_e32 v117, v2, v118
	v_fmamk_f16 v118, v45, 0x3b15, v119
	v_mul_f16_e32 v120, 0xb94e, v37
	v_mul_f16_e32 v83, 0xb9fd, v47
	;; [unrolled: 1-line block ×4, first 2 shown]
	v_add_f16_e32 v53, v53, v56
	v_sub_f16_e32 v56, v59, v85
	v_add_f16_e32 v57, v61, v57
	v_add_f16_e32 v59, v74, v72
	v_mul_f16_e32 v49, 0xb770, v49
	v_mul_f16_e32 v107, 0xbb7b, v55
	v_fma_f16 v110, v34, 0xbbc4, -v96
	v_mul_f16_e32 v111, 0x3770, v51
	v_fmac_f16_e32 v96, 0xbbc4, v34
	v_add_f16_e32 v117, v117, v118
	v_fmamk_f16 v118, v50, 0xb9fd, v120
	v_mul_f16_e32 v121, 0x3a95, v39
	v_add_f16_e32 v80, v83, v80
	v_mul_f16_e32 v83, 0x3bf1, v41
	v_sub_f16_e32 v60, v75, v60
	v_add_f16_e32 v53, v53, v56
	v_sub_f16_e32 v56, v63, v81
	v_add_f16_e32 v57, v59, v57
	v_fmamk_f16 v59, v34, 0x3b15, v49
	v_mul_f16_e32 v51, 0xba95, v51
	v_fma_f16 v109, v47, 0xb5ac, -v107
	v_add_f16_e32 v110, v11, v110
	v_fma_f16 v113, v36, 0x3b15, -v111
	v_mul_f16_e32 v114, 0xb94e, v54
	v_add_f16_e32 v96, v11, v96
	v_fmac_f16_e32 v111, 0x3b15, v36
	v_add_f16_e32 v117, v117, v118
	v_fmamk_f16 v118, v42, 0x388b, v121
	v_fma_f16 v115, v44, 0xbbc4, -v115
	v_mul_f16_e32 v70, 0x3b15, v47
	v_add_f16_e32 v60, v60, v64
	v_add_f16_e32 v53, v56, v53
	v_sub_f16_e32 v56, v67, v83
	v_add_f16_e32 v59, v11, v59
	v_fmamk_f16 v64, v36, 0x388b, v51
	v_mul_f16_e32 v44, 0x3b15, v44
	v_add_f16_e32 v95, v109, v95
	v_add_f16_e32 v109, v110, v113
	v_fma_f16 v110, v38, 0xb9fd, -v114
	v_mul_f16_e32 v113, 0x3a95, v58
	v_add_f16_e32 v96, v96, v111
	v_fmac_f16_e32 v114, 0xb9fd, v38
	v_add_f16_e32 v111, v118, v117
	v_mul_f16_e32 v117, 0xbb7b, v41
	v_add_f16_e32 v115, v2, v115
	v_fma_f16 v118, v45, 0x3b15, -v119
	v_mul_f16_e32 v73, 0x3770, v46
	v_add_f16_e32 v63, v70, v76
	v_add_f16_e32 v53, v56, v53
	;; [unrolled: 1-line block ×3, first 2 shown]
	v_fmamk_f16 v64, v33, 0x3770, v44
	v_mul_f16_e32 v45, 0x388b, v45
	v_add_f16_e32 v32, v11, v32
	v_add_f16_e32 v9, v2, v9
	;; [unrolled: 1-line block ×3, first 2 shown]
	v_fma_f16 v110, v40, 0x388b, -v113
	v_add_f16_e32 v96, v96, v114
	v_fmac_f16_e32 v113, 0x388b, v40
	v_fmamk_f16 v114, v48, 0xb5ac, v117
	v_mul_f16_e32 v119, 0x3bf1, v46
	v_add_f16_e32 v115, v115, v118
	v_fma_f16 v118, v50, 0xb9fd, -v120
	v_mul_f16_e32 v54, 0xbbf1, v54
	v_add_f16_e32 v57, v63, v57
	v_sub_f16_e32 v63, v69, v73
	v_add_f16_e32 v64, v2, v64
	v_fmamk_f16 v66, v35, 0x3a95, v45
	v_mul_f16_e32 v50, 0x2fb7, v50
	v_add_f16_e32 v31, v32, v31
	v_add_f16_e32 v8, v9, v8
	v_add_f16_e32 v96, v113, v96
	v_add_f16_e32 v111, v114, v111
	v_fmamk_f16 v113, v52, 0x2fb7, v119
	v_add_f16_e32 v114, v115, v118
	v_fma_f16 v115, v42, 0x388b, -v121
	v_fmamk_f16 v59, v38, 0x2fb7, v54
	v_mul_f16_e32 v58, 0xbb7b, v58
	v_add_f16_e32 v53, v63, v53
	v_add_f16_e32 v63, v64, v66
	v_fmamk_f16 v64, v37, 0x3bf1, v50
	v_mul_f16_e32 v42, 0xb5ac, v42
	v_add_f16_e32 v30, v31, v30
	v_add_f16_e32 v7, v8, v7
	v_mul_f16_e32 v116, 0xbb7b, v62
	v_add_f16_e32 v111, v113, v111
	v_add_f16_e32 v113, v115, v114
	v_fma_f16 v114, v48, 0xb5ac, -v117
	v_add_f16_e32 v56, v56, v59
	v_fmamk_f16 v59, v40, 0xb5ac, v58
	v_mul_f16_e32 v62, 0xb94e, v62
	v_add_f16_e32 v9, v63, v64
	v_fmamk_f16 v32, v39, 0x3b7b, v42
	v_mul_f16_e32 v48, 0xb9fd, v48
	v_add_f16_e32 v29, v30, v29
	v_add_f16_e32 v6, v7, v6
	;; [unrolled: 1-line block ×3, first 2 shown]
	v_fmamk_f16 v59, v43, 0xb9fd, v62
	v_mul_f16_e32 v8, 0xb3a8, v55
	v_add_f16_e32 v9, v32, v9
	v_fmamk_f16 v31, v41, 0x394e, v48
	v_mul_f16_e32 v7, 0xbbc4, v52
	v_add_f16_e32 v28, v29, v28
	v_add_f16_e32 v5, v6, v5
	;; [unrolled: 1-line block ×3, first 2 shown]
	v_fmamk_f16 v30, v47, 0xbbc4, v8
	v_add_f16_e32 v9, v31, v9
	v_fmamk_f16 v6, v46, 0x33a8, v7
	v_add_f16_e32 v27, v28, v27
	v_add_f16_e32 v4, v5, v4
	;; [unrolled: 1-line block ×3, first 2 shown]
	v_fma_f16 v30, v34, 0x3b15, -v49
	v_add_f16_e32 v5, v6, v9
	v_add_f16_e32 v9, v27, v26
	;; [unrolled: 1-line block ×3, first 2 shown]
	v_fmac_f16_e32 v44, 0xb770, v33
	v_add_f16_e32 v6, v11, v30
	v_fma_f16 v4, v36, 0x388b, -v51
	v_add_f16_e32 v9, v9, v24
	v_add_f16_e32 v3, v3, v19
	;; [unrolled: 1-line block ×3, first 2 shown]
	v_fmac_f16_e32 v45, 0xba95, v35
	v_add_f16_e32 v4, v6, v4
	v_fma_f16 v6, v38, 0x2fb7, -v54
	v_add_f16_e32 v9, v9, v23
	v_add_f16_e32 v3, v3, v18
	;; [unrolled: 1-line block ×3, first 2 shown]
	v_fma_f16 v110, v43, 0xb5ac, -v116
	v_add_f16_e32 v2, v2, v45
	v_fmac_f16_e32 v50, 0xbbf1, v37
	v_add_f16_e32 v4, v4, v6
	v_fma_f16 v6, v40, 0xb5ac, -v58
	v_add_f16_e32 v9, v9, v25
	v_add_f16_e32 v3, v3, v20
	;; [unrolled: 1-line block ×3, first 2 shown]
	v_mul_f16_e32 v110, 0x3bf1, v55
	v_fmac_f16_e32 v116, 0xb5ac, v43
	v_fmac_f16_e32 v102, 0xbbc4, v40
	v_add_f16_e32 v2, v2, v50
	v_fmac_f16_e32 v42, 0xbb7b, v39
	v_fmac_f16_e32 v90, 0xbbc4, v43
	v_mul_f16_e32 v75, 0xb94e, v46
	v_add_f16_e32 v4, v6, v4
	v_add_f16_e32 v6, v22, v9
	;; [unrolled: 1-line block ×3, first 2 shown]
	v_fma_f16 v122, v47, 0x2fb7, -v110
	v_add_f16_e32 v96, v116, v96
	v_fmac_f16_e32 v110, 0x2fb7, v47
	v_add_f16_e32 v92, v102, v92
	v_fmac_f16_e32 v103, 0x3b15, v43
	v_fma_f16 v9, v43, 0xb9fd, -v62
	v_add_f16_e32 v2, v42, v2
	v_fmac_f16_e32 v48, 0xb94e, v41
	v_add_f16_e32 v82, v90, v82
	v_fmac_f16_e32 v93, 0x388b, v47
	v_sub_f16_e32 v61, v77, v75
	v_add_f16_sdwa v6, v21, v6 dst_sel:WORD_1 dst_unused:UNUSED_PAD src0_sel:DWORD src1_sel:DWORD
	v_add_f16_e32 v3, v10, v3
	v_add_f16_e32 v96, v110, v96
	;; [unrolled: 1-line block ×3, first 2 shown]
	v_fma_f16 v113, v52, 0x2fb7, -v119
	v_add_f16_e32 v92, v103, v92
	v_fmac_f16_e32 v107, 0xb5ac, v47
	v_add_f16_e32 v4, v9, v4
	v_fma_f16 v8, v47, 0xbbc4, -v8
	v_add_f16_e32 v2, v48, v2
	v_fmac_f16_e32 v7, 0xb3a8, v46
	v_add_f16_e32 v82, v93, v82
	v_add_f16_e32 v65, v80, v71
	v_or_b32_sdwa v3, v6, v3 dst_sel:DWORD dst_unused:UNUSED_PAD src0_sel:DWORD src1_sel:WORD_0
	v_mad_u32_u24 v6, v12, 52, 0
	v_add_f16_e32 v10, v61, v60
	v_add_f16_e32 v97, v113, v110
	;; [unrolled: 1-line block ×3, first 2 shown]
	v_pack_b32_f16 v9, v53, v57
	v_pack_b32_f16 v5, v5, v29
	v_add_f16_e32 v109, v122, v109
	v_add_f16_e32 v4, v8, v4
	v_add_f16_e32 v2, v7, v2
	ds_write_b32 v6, v3
	ds_write2_b32 v6, v5, v9 offset0:1 offset1:2
	v_pack_b32_f16 v3, v10, v65
	v_pack_b32_f16 v5, v79, v82
	v_pack_b32_f16 v7, v97, v96
	v_pack_b32_f16 v8, v84, v92
	v_pack_b32_f16 v9, v100, v95
	v_pack_b32_f16 v10, v111, v109
	v_pack_b32_f16 v11, v89, v68
	v_perm_b32 v17, v16, v15, 0x5040100
	v_pack_b32_f16 v2, v2, v4
	v_perm_b32 v4, v14, v13, 0x5040100
	ds_write2_b32 v6, v3, v5 offset0:3 offset1:4
	ds_write2_b32 v6, v8, v7 offset0:5 offset1:6
	ds_write2_b32 v6, v10, v9 offset0:7 offset1:8
	ds_write2_b32 v6, v11, v17 offset0:9 offset1:10
	ds_write2_b32 v6, v4, v2 offset0:11 offset1:12
.LBB0_13:
	s_or_b32 exec_lo, exec_lo, s1
	v_add_nc_u32_e32 v3, 0x270, v12
	v_mov_b32_e32 v2, 0x4ec5
	v_add_nc_u32_e32 v17, 0x1d4, v12
	v_add_nc_u32_e32 v18, 0x138, v12
	;; [unrolled: 1-line block ×3, first 2 shown]
	v_and_b32_e32 v4, 0xff, v12
	v_mul_u32_u24_sdwa v11, v3, v2 dst_sel:DWORD dst_unused:UNUSED_PAD src0_sel:WORD_0 src1_sel:DWORD
	v_mul_u32_u24_sdwa v25, v17, v2 dst_sel:DWORD dst_unused:UNUSED_PAD src0_sel:WORD_0 src1_sel:DWORD
	v_mul_u32_u24_sdwa v26, v18, v2 dst_sel:DWORD dst_unused:UNUSED_PAD src0_sel:WORD_0 src1_sel:DWORD
	v_mul_u32_u24_sdwa v27, v19, v2 dst_sel:DWORD dst_unused:UNUSED_PAD src0_sel:WORD_0 src1_sel:DWORD
	v_mul_lo_u16 v24, 0x4f, v4
	v_lshrrev_b32_e32 v28, 18, v11
	v_lshrrev_b32_e32 v30, 18, v25
	;; [unrolled: 1-line block ×4, first 2 shown]
	v_lshrrev_b16 v29, 10, v24
	v_mul_lo_u16 v2, v28, 13
	v_mul_lo_u16 v5, v30, 13
	;; [unrolled: 1-line block ×5, first 2 shown]
	v_sub_nc_u16 v8, v3, v2
	v_mov_b32_e32 v2, 2
	v_sub_nc_u16 v5, v17, v5
	v_sub_nc_u16 v6, v18, v6
	;; [unrolled: 1-line block ×4, first 2 shown]
	v_lshlrev_b32_sdwa v33, v2, v8 dst_sel:DWORD dst_unused:UNUSED_PAD src0_sel:DWORD src1_sel:WORD_0
	v_lshlrev_b32_sdwa v34, v2, v5 dst_sel:DWORD dst_unused:UNUSED_PAD src0_sel:DWORD src1_sel:WORD_0
	;; [unrolled: 1-line block ×4, first 2 shown]
	v_lshlrev_b32_sdwa v37, v2, v4 dst_sel:DWORD dst_unused:UNUSED_PAD src0_sel:DWORD src1_sel:BYTE_0
	s_waitcnt lgkmcnt(0)
	s_barrier
	buffer_gl0_inv
	s_clause 0x4
	global_load_dword v38, v33, s[8:9]
	global_load_dword v39, v34, s[8:9]
	;; [unrolled: 1-line block ×5, first 2 shown]
	v_lshl_add_u32 v4, v12, 2, 0
	v_mov_b32_e32 v43, 0x68
	v_mul_u32_u24_e32 v32, 0x68, v32
	v_mul_u32_u24_e32 v31, 0x68, v31
	v_mul_u32_u24_e32 v30, 0x68, v30
	v_add_nc_u32_e32 v44, 0x900, v4
	v_add_nc_u32_e32 v45, 0xe00, v4
	v_add_nc_u32_e32 v46, 0x400, v4
	v_add_nc_u32_e32 v47, 0x1200, v4
	ds_read2_b32 v[5:6], v4 offset1:156
	ds_read2_b32 v[7:8], v44 offset0:48 offset1:204
	ds_read2_b32 v[9:10], v45 offset0:40 offset1:196
	;; [unrolled: 1-line block ×4, first 2 shown]
	v_mul_u32_u24_sdwa v29, v29, v43 dst_sel:DWORD dst_unused:UNUSED_PAD src0_sel:WORD_0 src1_sel:DWORD
	v_lshrrev_b32_e32 v11, 19, v11
	v_mul_u32_u24_e32 v28, 0x68, v28
	v_add3_u32 v32, 0, v32, v36
	v_add3_u32 v31, 0, v31, v35
	;; [unrolled: 1-line block ×4, first 2 shown]
	v_mul_lo_u16 v52, v11, 26
	v_add3_u32 v28, 0, v28, v33
	v_lshrrev_b32_e32 v25, 19, v25
	v_lshrrev_b32_e32 v26, 19, v26
	v_lshrrev_b32_e32 v27, 19, v27
	v_lshrrev_b16 v48, 11, v24
	v_sub_nc_u16 v3, v3, v52
	v_mul_lo_u16 v51, v25, 26
	v_mul_lo_u16 v50, v26, 26
	;; [unrolled: 1-line block ×4, first 2 shown]
	v_lshlrev_b32_sdwa v3, v2, v3 dst_sel:DWORD dst_unused:UNUSED_PAD src0_sel:DWORD src1_sel:WORD_0
	v_sub_nc_u16 v51, v17, v51
	v_sub_nc_u16 v50, v18, v50
	;; [unrolled: 1-line block ×4, first 2 shown]
	s_waitcnt vmcnt(0) lgkmcnt(0)
	v_lshlrev_b32_sdwa v51, v2, v51 dst_sel:DWORD dst_unused:UNUSED_PAD src0_sel:DWORD src1_sel:WORD_0
	v_lshlrev_b32_sdwa v50, v2, v50 dst_sel:DWORD dst_unused:UNUSED_PAD src0_sel:DWORD src1_sel:WORD_0
	;; [unrolled: 1-line block ×3, first 2 shown]
	v_lshlrev_b32_sdwa v43, v2, v43 dst_sel:DWORD dst_unused:UNUSED_PAD src0_sel:DWORD src1_sel:BYTE_0
	s_barrier
	buffer_gl0_inv
	v_mul_u32_u24_e32 v11, 0xd0, v11
	v_cmp_gt_u32_e64 s0, 52, v12
	v_pk_mul_f16 v33, v38, v23 op_sel:[0,1]
	v_pk_mul_f16 v34, v39, v22 op_sel:[0,1]
	;; [unrolled: 1-line block ×5, first 2 shown]
	v_pk_fma_f16 v52, v38, v23, v33 op_sel:[0,0,1] op_sel_hi:[1,1,0] neg_lo:[0,0,1] neg_hi:[0,0,1]
	v_pk_fma_f16 v53, v39, v22, v34 op_sel:[0,0,1] op_sel_hi:[1,1,0] neg_lo:[0,0,1] neg_hi:[0,0,1]
	;; [unrolled: 1-line block ×5, first 2 shown]
	v_pk_fma_f16 v8, v42, v8, v37 op_sel:[0,0,1] op_sel_hi:[1,0,0]
	v_pk_fma_f16 v9, v41, v9, v36 op_sel:[0,0,1] op_sel_hi:[1,0,0]
	;; [unrolled: 1-line block ×5, first 2 shown]
	v_bfi_b32 v8, 0xffff, v56, v8
	v_bfi_b32 v9, 0xffff, v55, v9
	;; [unrolled: 1-line block ×5, first 2 shown]
	v_pk_add_f16 v8, v5, v8 neg_lo:[0,1] neg_hi:[0,1]
	v_pk_add_f16 v9, v6, v9 neg_lo:[0,1] neg_hi:[0,1]
	;; [unrolled: 1-line block ×5, first 2 shown]
	v_pk_fma_f16 v5, v5, 2.0, v8 op_sel_hi:[1,0,1] neg_lo:[0,0,1] neg_hi:[0,0,1]
	v_pk_fma_f16 v6, v6, 2.0, v9 op_sel_hi:[1,0,1] neg_lo:[0,0,1] neg_hi:[0,0,1]
	;; [unrolled: 1-line block ×5, first 2 shown]
	ds_write2_b32 v29, v5, v8 offset1:13
	ds_write2_b32 v32, v6, v9 offset1:13
	;; [unrolled: 1-line block ×5, first 2 shown]
	s_waitcnt lgkmcnt(0)
	s_barrier
	buffer_gl0_inv
	s_clause 0x4
	global_load_dword v28, v3, s[8:9] offset:52
	global_load_dword v29, v51, s[8:9] offset:52
	;; [unrolled: 1-line block ×5, first 2 shown]
	v_lshrrev_b16 v33, 12, v24
	v_mov_b32_e32 v5, 0xd0
	ds_read2_b32 v[7:8], v45 offset0:40 offset1:196
	v_mov_b32_e32 v20, 9
	v_mul_u32_u24_e32 v22, 0xd0, v27
	v_mul_lo_u16 v9, v33, 52
	v_mul_u32_u24_sdwa v21, v48, v5 dst_sel:DWORD dst_unused:UNUSED_PAD src0_sel:WORD_0 src1_sel:DWORD
	ds_read2_b32 v[5:6], v47 offset0:96 offset1:252
	v_mul_u32_u24_e32 v23, 0xd0, v26
	v_mul_u32_u24_e32 v24, 0xd0, v25
	v_sub_nc_u16 v34, v12, v9
	ds_read2_b32 v[9:10], v44 offset0:48 offset1:204
	v_add3_u32 v25, 0, v21, v43
	v_add3_u32 v26, 0, v22, v49
	;; [unrolled: 1-line block ×3, first 2 shown]
	v_mul_u32_u24_sdwa v20, v34, v20 dst_sel:DWORD dst_unused:UNUSED_PAD src0_sel:BYTE_0 src1_sel:DWORD
	v_add3_u32 v3, 0, v11, v3
	v_add3_u32 v24, 0, v24, v51
	v_lshlrev_b32_e32 v11, 2, v20
	ds_read2_b32 v[20:21], v4 offset1:156
	ds_read2_b32 v[22:23], v46 offset0:56 offset1:212
	s_waitcnt vmcnt(0) lgkmcnt(0)
	s_barrier
	buffer_gl0_inv
	v_pk_mul_f16 v35, v28, v6 op_sel:[0,1]
	v_pk_mul_f16 v36, v29, v5 op_sel:[0,1]
	;; [unrolled: 1-line block ×5, first 2 shown]
	v_pk_fma_f16 v40, v28, v6, v35 op_sel:[0,0,1] op_sel_hi:[1,1,0] neg_lo:[0,0,1] neg_hi:[0,0,1]
	v_pk_fma_f16 v41, v29, v5, v36 op_sel:[0,0,1] op_sel_hi:[1,1,0] neg_lo:[0,0,1] neg_hi:[0,0,1]
	;; [unrolled: 1-line block ×5, first 2 shown]
	v_pk_fma_f16 v10, v32, v10, v39 op_sel:[0,0,1] op_sel_hi:[1,0,0]
	v_pk_fma_f16 v7, v31, v7, v38 op_sel:[0,0,1] op_sel_hi:[1,0,0]
	;; [unrolled: 1-line block ×5, first 2 shown]
	v_bfi_b32 v10, 0xffff, v48, v10
	v_bfi_b32 v7, 0xffff, v43, v7
	;; [unrolled: 1-line block ×5, first 2 shown]
	v_pk_add_f16 v10, v20, v10 neg_lo:[0,1] neg_hi:[0,1]
	v_pk_add_f16 v7, v21, v7 neg_lo:[0,1] neg_hi:[0,1]
	v_pk_add_f16 v8, v22, v8 neg_lo:[0,1] neg_hi:[0,1]
	v_pk_add_f16 v5, v23, v5 neg_lo:[0,1] neg_hi:[0,1]
	v_pk_add_f16 v6, v9, v6 neg_lo:[0,1] neg_hi:[0,1]
	v_pk_fma_f16 v20, v20, 2.0, v10 op_sel_hi:[1,0,1] neg_lo:[0,0,1] neg_hi:[0,0,1]
	v_pk_fma_f16 v21, v21, 2.0, v7 op_sel_hi:[1,0,1] neg_lo:[0,0,1] neg_hi:[0,0,1]
	;; [unrolled: 1-line block ×5, first 2 shown]
	ds_write2_b32 v25, v20, v10 offset1:26
	ds_write2_b32 v26, v21, v7 offset1:26
	;; [unrolled: 1-line block ×5, first 2 shown]
	s_waitcnt lgkmcnt(0)
	s_barrier
	buffer_gl0_inv
	s_clause 0x2
	global_load_dwordx4 v[5:8], v11, s[8:9] offset:156
	global_load_dwordx4 v[20:23], v11, s[8:9] offset:172
	global_load_dword v11, v11, s[8:9] offset:188
	v_mov_b32_e32 v3, 0x820
	ds_read2_b32 v[9:10], v4 offset1:156
	ds_read2_b32 v[24:25], v45 offset0:40 offset1:196
	ds_read2_b32 v[26:27], v47 offset0:96 offset1:252
	v_lshlrev_b32_sdwa v31, v2, v34 dst_sel:DWORD dst_unused:UNUSED_PAD src0_sel:DWORD src1_sel:BYTE_0
	v_add_nc_u32_e32 v32, 0x1000, v4
	v_mul_u32_u24_sdwa v30, v33, v3 dst_sel:DWORD dst_unused:UNUSED_PAD src0_sel:WORD_0 src1_sel:DWORD
	ds_read2_b32 v[2:3], v46 offset0:56 offset1:212
	ds_read2_b32 v[28:29], v44 offset0:48 offset1:204
	v_add_nc_u32_e32 v33, 0xa00, v4
	s_waitcnt vmcnt(0) lgkmcnt(0)
	s_barrier
	v_add3_u32 v30, 0, v30, v31
	v_add_nc_u32_e32 v31, 0x480, v4
	buffer_gl0_inv
	v_add_nc_u32_e32 v34, 0x200, v30
	v_add_nc_u32_e32 v35, 0x400, v30
	v_lshrrev_b32_e32 v41, 16, v10
	v_lshrrev_b32_e32 v37, 16, v24
	;; [unrolled: 1-line block ×10, first 2 shown]
	v_mul_f16_sdwa v46, v5, v41 dst_sel:DWORD dst_unused:UNUSED_PAD src0_sel:WORD_1 src1_sel:DWORD
	v_mul_f16_sdwa v47, v5, v10 dst_sel:DWORD dst_unused:UNUSED_PAD src0_sel:WORD_1 src1_sel:DWORD
	;; [unrolled: 1-line block ×10, first 2 shown]
	v_mul_f16_sdwa v56, v37, v21 dst_sel:DWORD dst_unused:UNUSED_PAD src0_sel:DWORD src1_sel:WORD_1
	v_mul_f16_sdwa v57, v24, v21 dst_sel:DWORD dst_unused:UNUSED_PAD src0_sel:DWORD src1_sel:WORD_1
	;; [unrolled: 1-line block ×8, first 2 shown]
	v_fma_f16 v10, v5, v10, -v46
	v_fmac_f16_e32 v47, v5, v41
	v_fma_f16 v2, v6, v2, -v48
	v_fmac_f16_e32 v49, v6, v42
	v_fma_f16 v3, v7, v3, -v50
	v_fmac_f16_e32 v51, v7, v43
	v_fma_f16 v5, v8, v28, -v52
	v_fmac_f16_e32 v53, v8, v44
	v_fma_f16 v6, v20, v29, -v54
	v_fmac_f16_e32 v55, v20, v45
	v_fma_f16 v7, v24, v21, -v56
	v_fmac_f16_e32 v57, v37, v21
	v_fma_f16 v8, v25, v22, -v58
	v_fmac_f16_e32 v59, v38, v22
	v_fma_f16 v20, v26, v23, -v60
	v_fmac_f16_e32 v61, v39, v23
	v_fma_f16 v21, v27, v11, -v62
	v_fmac_f16_e32 v63, v40, v11
	v_add_f16_e32 v11, v9, v2
	v_add_f16_e32 v22, v5, v7
	v_sub_f16_e32 v25, v2, v5
	v_sub_f16_e32 v26, v20, v7
	v_add_f16_e32 v27, v2, v20
	v_add_f16_e32 v37, v36, v49
	;; [unrolled: 1-line block ×9, first 2 shown]
	v_sub_f16_e32 v28, v5, v2
	v_sub_f16_e32 v29, v7, v20
	;; [unrolled: 1-line block ×9, first 2 shown]
	v_add_f16_e32 v60, v47, v51
	v_sub_f16_e32 v3, v3, v21
	v_sub_f16_e32 v64, v6, v8
	v_add_f16_e32 v5, v11, v5
	v_fma_f16 v11, -0.5, v22, v9
	v_add_f16_e32 v22, v25, v26
	v_fmac_f16_e32 v9, -0.5, v27
	v_add_f16_e32 v26, v37, v53
	v_fma_f16 v27, -0.5, v38, v36
	v_fmac_f16_e32 v36, -0.5, v42
	v_add_f16_e32 v6, v45, v6
	v_fma_f16 v37, -0.5, v46, v10
	v_fma_f16 v42, -0.5, v62, v47
	v_sub_f16_e32 v23, v49, v61
	v_sub_f16_e32 v43, v53, v49
	;; [unrolled: 1-line block ×7, first 2 shown]
	v_fmac_f16_e32 v10, -0.5, v54
	v_fmac_f16_e32 v47, -0.5, v67
	v_sub_f16_e32 v58, v8, v21
	v_sub_f16_e32 v66, v63, v59
	v_add_f16_e32 v25, v28, v29
	v_add_f16_e32 v28, v40, v41
	;; [unrolled: 1-line block ×5, first 2 shown]
	v_fmamk_f16 v8, v48, 0x3b9c, v37
	v_fmamk_f16 v52, v3, 0xbb9c, v42
	v_sub_f16_e32 v24, v53, v57
	v_add_f16_e32 v29, v43, v44
	v_add_f16_e32 v44, v51, v68
	v_fmamk_f16 v51, v49, 0xbb9c, v10
	v_fmac_f16_e32 v10, 0x3b9c, v49
	v_fmamk_f16 v53, v64, 0x3b9c, v47
	v_fmac_f16_e32 v47, 0xbb9c, v64
	v_sub_f16_e32 v2, v2, v20
	v_fmac_f16_e32 v37, 0xbb9c, v48
	v_fmac_f16_e32 v42, 0x3b9c, v3
	v_add_f16_e32 v43, v65, v66
	v_add_f16_e32 v5, v5, v7
	;; [unrolled: 1-line block ×3, first 2 shown]
	v_fmamk_f16 v50, v39, 0x3b9c, v36
	v_fmac_f16_e32 v36, 0xbb9c, v39
	v_add_f16_e32 v41, v41, v59
	v_fmac_f16_e32 v8, 0x38b4, v49
	v_fmac_f16_e32 v52, 0xb8b4, v64
	v_add_f16_e32 v40, v56, v58
	v_fmamk_f16 v7, v23, 0x3b9c, v11
	v_fmac_f16_e32 v11, 0xbb9c, v23
	v_fmamk_f16 v45, v24, 0xbb9c, v9
	v_fmac_f16_e32 v9, 0x3b9c, v24
	v_fmac_f16_e32 v51, 0x38b4, v48
	;; [unrolled: 1-line block ×5, first 2 shown]
	v_fmamk_f16 v46, v2, 0xbb9c, v27
	v_fmac_f16_e32 v27, 0x3b9c, v2
	v_fmac_f16_e32 v37, 0xb8b4, v49
	;; [unrolled: 1-line block ×3, first 2 shown]
	v_add_f16_e32 v5, v5, v20
	v_add_f16_e32 v20, v26, v61
	v_fmac_f16_e32 v50, 0xb8b4, v2
	v_fmac_f16_e32 v36, 0x38b4, v2
	v_add_f16_e32 v2, v6, v21
	v_add_f16_e32 v6, v41, v63
	v_fmac_f16_e32 v8, 0x34f2, v38
	v_fmac_f16_e32 v52, 0x34f2, v43
	;; [unrolled: 1-line block ×14, first 2 shown]
	v_add_f16_e32 v3, v5, v2
	v_add_f16_e32 v21, v20, v6
	v_sub_f16_e32 v2, v5, v2
	v_sub_f16_e32 v5, v20, v6
	v_mul_f16_e32 v6, 0x38b4, v52
	v_mul_f16_e32 v24, 0xb8b4, v8
	v_fmac_f16_e32 v7, 0x34f2, v22
	v_fmac_f16_e32 v11, 0x34f2, v22
	;; [unrolled: 1-line block ×4, first 2 shown]
	v_mul_f16_e32 v20, 0x3b9c, v53
	v_mul_f16_e32 v22, 0x34f2, v10
	;; [unrolled: 1-line block ×4, first 2 shown]
	v_fmac_f16_e32 v46, 0x34f2, v28
	v_fmac_f16_e32 v27, 0x34f2, v28
	v_mul_f16_e32 v23, 0x3a79, v37
	v_mul_f16_e32 v28, 0x3a79, v42
	v_fmac_f16_e32 v6, 0x3a79, v8
	v_fmac_f16_e32 v24, 0x3a79, v52
	;; [unrolled: 1-line block ×4, first 2 shown]
	v_pack_b32_f16 v2, v2, v5
	v_fmac_f16_e32 v20, 0x34f2, v51
	v_fma_f16 v5, v47, 0x3b9c, -v22
	v_fmac_f16_e32 v25, 0x34f2, v53
	v_fma_f16 v10, v10, 0xbb9c, -v26
	v_pack_b32_f16 v3, v3, v21
	v_fma_f16 v8, v42, 0x38b4, -v23
	v_fma_f16 v21, v37, 0xb8b4, -v28
	v_add_f16_e32 v22, v7, v6
	v_add_f16_e32 v29, v46, v24
	;; [unrolled: 1-line block ×8, first 2 shown]
	v_sub_f16_e32 v6, v7, v6
	v_sub_f16_e32 v7, v45, v20
	v_sub_f16_e32 v5, v9, v5
	v_sub_f16_e32 v20, v11, v8
	v_sub_f16_e32 v8, v46, v24
	v_sub_f16_e32 v9, v50, v25
	v_sub_f16_e32 v10, v36, v10
	v_sub_f16_e32 v21, v27, v21
	v_pack_b32_f16 v11, v22, v29
	v_pack_b32_f16 v22, v23, v37
	;; [unrolled: 1-line block ×8, first 2 shown]
	ds_write2_b32 v30, v3, v11 offset1:52
	ds_write2_b32 v30, v22, v23 offset0:104 offset1:156
	ds_write2_b32 v34, v24, v2 offset0:80 offset1:132
	;; [unrolled: 1-line block ×4, first 2 shown]
	s_waitcnt lgkmcnt(0)
	s_barrier
	buffer_gl0_inv
	ds_read2_b32 v[2:3], v4 offset1:156
	ds_read2_b32 v[6:7], v31 offset0:24 offset1:232
	ds_read2_b32 v[8:9], v32 offset0:16 offset1:172
	;; [unrolled: 1-line block ×3, first 2 shown]
	ds_read_b32 v22, v4 offset:5408
	s_and_saveexec_b32 s1, s0
	s_cbranch_execz .LBB0_15
; %bb.14:
	ds_read_b32 v20, v4 offset:1872
	ds_read_b32 v13, v4 offset:6032
	;; [unrolled: 1-line block ×3, first 2 shown]
	s_waitcnt lgkmcnt(2)
	v_lshrrev_b32_e32 v21, 16, v20
	s_waitcnt lgkmcnt(1)
	v_lshrrev_b32_e32 v14, 16, v13
	;; [unrolled: 2-line block ×3, first 2 shown]
.LBB0_15:
	s_or_b32 exec_lo, exec_lo, s1
	s_and_saveexec_b32 s1, vcc_lo
	s_cbranch_execz .LBB0_18
; %bb.16:
	v_lshlrev_b32_e32 v4, 1, v18
	v_mov_b32_e32 v5, 0
	v_mad_u64_u32 v[29:30], null, s2, v12, 0
	v_add_nc_u32_e32 v44, 0x208, v12
	v_add_nc_u32_e32 v45, 0x410, v12
	v_lshlrev_b64 v[23:24], 2, v[4:5]
	v_lshlrev_b32_e32 v4, 1, v19
	v_mad_u64_u32 v[31:32], null, s2, v19, 0
	v_add_nc_u32_e32 v46, 0x2a4, v12
	v_add_nc_u32_e32 v47, 0x4ac, v12
	v_lshlrev_b64 v[25:26], 2, v[4:5]
	v_lshlrev_b32_e32 v4, 1, v12
	v_add_co_u32 v23, vcc_lo, s8, v23
	v_add_co_ci_u32_e32 v24, vcc_lo, s9, v24, vcc_lo
	v_lshlrev_b64 v[27:28], 2, v[4:5]
	v_add_co_u32 v25, vcc_lo, s8, v25
	global_load_dwordx2 v[23:24], v[23:24], off offset:2028
	v_add_co_ci_u32_e32 v26, vcc_lo, s9, v26, vcc_lo
	v_add_co_u32 v27, vcc_lo, s8, v27
	v_add_co_ci_u32_e32 v28, vcc_lo, s9, v28, vcc_lo
	global_load_dwordx2 v[25:26], v[25:26], off offset:2028
	v_mul_hi_u32 v41, 0xfc0fc0fd, v18
	v_mad_u64_u32 v[33:34], null, s2, v44, 0
	global_load_dwordx2 v[27:28], v[27:28], off offset:2028
	v_mad_u64_u32 v[35:36], null, s2, v45, 0
	v_mad_u64_u32 v[37:38], null, s2, v46, 0
	;; [unrolled: 1-line block ×3, first 2 shown]
	v_mov_b32_e32 v4, v30
	v_mov_b32_e32 v30, v32
	v_lshrrev_b32_e32 v48, 9, v41
	v_mov_b32_e32 v32, v36
	s_waitcnt lgkmcnt(1)
	v_lshrrev_b32_e32 v53, 16, v11
	v_mad_u64_u32 v[41:42], null, s3, v12, v[4:5]
	v_mov_b32_e32 v4, v34
	v_mad_u64_u32 v[42:43], null, s3, v19, v[30:31]
	v_mov_b32_e32 v19, v38
	v_mov_b32_e32 v30, v40
	v_mad_u32_u24 v59, 0x410, v48, v18
	v_mad_u64_u32 v[43:44], null, s3, v44, v[4:5]
	v_mad_u64_u32 v[44:45], null, s3, v45, v[32:33]
	;; [unrolled: 1-line block ×5, first 2 shown]
	v_add_nc_u32_e32 v60, 0x208, v59
	v_add_nc_u32_e32 v61, 0x410, v59
	v_mov_b32_e32 v34, v43
	v_mov_b32_e32 v36, v44
	;; [unrolled: 1-line block ×7, first 2 shown]
	v_mad_u64_u32 v[41:42], null, s2, v60, 0
	v_mad_u64_u32 v[48:49], null, s2, v61, 0
	v_lshlrev_b64 v[18:19], 2, v[33:34]
	v_lshlrev_b64 v[33:34], 2, v[35:36]
	;; [unrolled: 1-line block ×4, first 2 shown]
	v_mad_u64_u32 v[39:40], null, s3, v59, v[4:5]
	v_mov_b32_e32 v4, v42
	v_mov_b32_e32 v40, v49
	s_waitcnt lgkmcnt(0)
	v_lshrrev_b32_e32 v54, 16, v22
	v_lshrrev_b32_e32 v55, 16, v10
	;; [unrolled: 1-line block ×3, first 2 shown]
	v_mad_u64_u32 v[42:43], null, s3, v60, v[4:5]
	v_mov_b32_e32 v47, v39
	v_mad_u64_u32 v[43:44], null, s3, v61, v[40:41]
	v_lshrrev_b32_e32 v52, 16, v6
	v_lshrrev_b32_e32 v57, 16, v7
	v_lshlrev_b64 v[39:40], 2, v[46:47]
	v_lshrrev_b32_e32 v58, 16, v8
	v_lshlrev_b64 v[29:30], 2, v[29:30]
	v_add_co_u32 v0, vcc_lo, s12, v0
	v_mov_b32_e32 v49, v43
	v_lshrrev_b32_e32 v51, 16, v3
	v_add_co_ci_u32_e32 v1, vcc_lo, s13, v1, vcc_lo
	v_lshlrev_b64 v[31:32], 2, v[31:32]
	v_lshlrev_b64 v[43:44], 2, v[48:49]
	v_add_co_u32 v29, vcc_lo, v0, v29
	v_add_co_ci_u32_e32 v30, vcc_lo, v1, v30, vcc_lo
	v_add_co_u32 v31, vcc_lo, v0, v31
	v_add_co_ci_u32_e32 v32, vcc_lo, v1, v32, vcc_lo
	v_lshrrev_b32_e32 v50, 16, v2
	v_add_co_u32 v18, vcc_lo, v0, v18
	v_add_co_ci_u32_e32 v19, vcc_lo, v1, v19, vcc_lo
	v_add_co_u32 v33, vcc_lo, v0, v33
	v_add_co_ci_u32_e32 v34, vcc_lo, v1, v34, vcc_lo
	;; [unrolled: 2-line block ×3, first 2 shown]
	v_add_co_u32 v37, vcc_lo, v0, v37
	v_lshlrev_b64 v[41:42], 2, v[41:42]
	v_add_co_ci_u32_e32 v38, vcc_lo, v1, v38, vcc_lo
	v_add_co_u32 v39, vcc_lo, v0, v39
	v_add_co_ci_u32_e32 v40, vcc_lo, v1, v40, vcc_lo
	v_add_co_u32 v41, vcc_lo, v0, v41
	;; [unrolled: 2-line block ×3, first 2 shown]
	v_add_co_ci_u32_e32 v44, vcc_lo, v1, v44, vcc_lo
	s_waitcnt vmcnt(2)
	v_mul_f16_sdwa v4, v23, v53 dst_sel:DWORD dst_unused:UNUSED_PAD src0_sel:WORD_1 src1_sel:DWORD
	v_mul_f16_sdwa v45, v24, v54 dst_sel:DWORD dst_unused:UNUSED_PAD src0_sel:WORD_1 src1_sel:DWORD
	;; [unrolled: 1-line block ×4, first 2 shown]
	v_fma_f16 v4, v23, v11, -v4
	v_fma_f16 v11, v24, v22, -v45
	v_fmac_f16_e32 v46, v23, v53
	v_fmac_f16_e32 v47, v24, v54
	s_waitcnt vmcnt(1)
	v_mul_f16_sdwa v22, v25, v55 dst_sel:DWORD dst_unused:UNUSED_PAD src0_sel:WORD_1 src1_sel:DWORD
	v_mul_f16_sdwa v23, v26, v56 dst_sel:DWORD dst_unused:UNUSED_PAD src0_sel:WORD_1 src1_sel:DWORD
	;; [unrolled: 1-line block ×4, first 2 shown]
	v_add_f16_e32 v49, v46, v47
	v_add_f16_e32 v53, v4, v11
	v_sub_f16_e32 v54, v46, v47
	v_add_f16_e32 v46, v52, v46
	v_fma_f16 v10, v25, v10, -v22
	v_fma_f16 v9, v26, v9, -v23
	v_fmac_f16_e32 v24, v25, v55
	v_fmac_f16_e32 v45, v26, v56
	s_waitcnt vmcnt(0)
	v_mul_f16_sdwa v22, v27, v57 dst_sel:DWORD dst_unused:UNUSED_PAD src0_sel:WORD_1 src1_sel:DWORD
	v_mul_f16_sdwa v23, v28, v58 dst_sel:DWORD dst_unused:UNUSED_PAD src0_sel:WORD_1 src1_sel:DWORD
	;; [unrolled: 1-line block ×4, first 2 shown]
	v_sub_f16_e32 v48, v4, v11
	v_add_f16_e32 v4, v6, v4
	v_fma_f16 v6, -0.5, v53, v6
	v_add_f16_e32 v46, v46, v47
	v_add_f16_e32 v47, v24, v45
	v_sub_f16_e32 v53, v24, v45
	v_add_f16_e32 v24, v51, v24
	v_fma_f16 v7, v27, v7, -v22
	v_fma_f16 v8, v28, v8, -v23
	v_fmac_f16_e32 v25, v27, v57
	v_fmac_f16_e32 v26, v28, v58
	v_fma_f16 v49, -0.5, v49, v52
	v_add_f16_e32 v4, v4, v11
	v_sub_f16_e32 v11, v10, v9
	v_add_f16_e32 v52, v10, v9
	v_add_f16_e32 v10, v3, v10
	v_fma_f16 v27, -0.5, v47, v51
	v_add_f16_e32 v24, v24, v45
	v_add_f16_e32 v28, v25, v26
	;; [unrolled: 1-line block ×4, first 2 shown]
	v_sub_f16_e32 v10, v7, v8
	v_sub_f16_e32 v47, v25, v26
	v_add_f16_e32 v25, v50, v25
	v_add_f16_e32 v7, v2, v7
	v_pack_b32_f16 v4, v4, v46
	v_fmamk_f16 v46, v11, 0x3aee, v27
	v_fmac_f16_e32 v27, 0xbaee, v11
	v_fma_f16 v11, -0.5, v28, v50
	v_fma_f16 v2, -0.5, v45, v2
	v_fma_f16 v3, -0.5, v52, v3
	v_add_f16_e32 v25, v25, v26
	v_add_f16_e32 v7, v7, v8
	v_fmamk_f16 v8, v10, 0x3aee, v11
	v_fmamk_f16 v26, v47, 0xbaee, v2
	v_fmac_f16_e32 v11, 0xbaee, v10
	v_fmac_f16_e32 v2, 0x3aee, v47
	v_fmamk_f16 v22, v48, 0x3aee, v49
	v_fmac_f16_e32 v49, 0xbaee, v48
	v_fmamk_f16 v48, v53, 0xbaee, v3
	;; [unrolled: 2-line block ×3, first 2 shown]
	v_fmac_f16_e32 v6, 0x3aee, v54
	v_pack_b32_f16 v7, v7, v25
	v_pack_b32_f16 v2, v2, v11
	;; [unrolled: 1-line block ×8, first 2 shown]
	global_store_dword v[29:30], v7, off
	global_store_dword v[18:19], v2, off
	;; [unrolled: 1-line block ×9, first 2 shown]
	s_and_b32 exec_lo, exec_lo, s0
	s_cbranch_execz .LBB0_18
; %bb.17:
	v_subrev_nc_u32_e32 v2, 52, v12
	v_add_nc_u32_e32 v18, 0x3dc, v12
	v_add_nc_u32_e32 v19, 0x5e4, v12
	v_cndmask_b32_e64 v2, v2, v17, s0
	v_mad_u64_u32 v[6:7], null, s2, v18, 0
	v_mad_u64_u32 v[8:9], null, s2, v19, 0
	v_lshlrev_b32_e32 v4, 1, v2
	v_lshlrev_b64 v[2:3], 2, v[4:5]
	v_mad_u64_u32 v[4:5], null, s2, v17, 0
	v_add_co_u32 v2, vcc_lo, s8, v2
	v_add_co_ci_u32_e32 v3, vcc_lo, s9, v3, vcc_lo
	v_mad_u64_u32 v[10:11], null, s3, v17, v[5:6]
	v_mad_u64_u32 v[11:12], null, s3, v18, v[7:8]
	global_load_dwordx2 v[2:3], v[2:3], off offset:2028
	v_mad_u64_u32 v[17:18], null, s3, v19, v[9:10]
	v_mov_b32_e32 v5, v10
	v_mov_b32_e32 v7, v11
	v_lshlrev_b64 v[4:5], 2, v[4:5]
	v_mov_b32_e32 v9, v17
	v_lshlrev_b64 v[6:7], 2, v[6:7]
	v_add_co_u32 v4, vcc_lo, v0, v4
	v_add_co_ci_u32_e32 v5, vcc_lo, v1, v5, vcc_lo
	v_lshlrev_b64 v[8:9], 2, v[8:9]
	s_waitcnt vmcnt(0)
	v_mul_f16_sdwa v10, v16, v2 dst_sel:DWORD dst_unused:UNUSED_PAD src0_sel:DWORD src1_sel:WORD_1
	v_mul_f16_sdwa v11, v15, v2 dst_sel:DWORD dst_unused:UNUSED_PAD src0_sel:DWORD src1_sel:WORD_1
	;; [unrolled: 1-line block ×4, first 2 shown]
	v_fma_f16 v10, v15, v2, -v10
	v_fmac_f16_e32 v11, v16, v2
	v_fma_f16 v12, v13, v3, -v12
	v_fmac_f16_e32 v17, v14, v3
	v_add_co_u32 v2, vcc_lo, v0, v6
	v_add_co_ci_u32_e32 v3, vcc_lo, v1, v7, vcc_lo
	v_add_f16_e32 v6, v10, v12
	v_add_f16_e32 v13, v11, v17
	;; [unrolled: 1-line block ×3, first 2 shown]
	v_sub_f16_e32 v14, v11, v17
	v_add_f16_e32 v11, v21, v11
	v_fmac_f16_e32 v20, -0.5, v6
	v_sub_f16_e32 v6, v10, v12
	v_fmac_f16_e32 v21, -0.5, v13
	v_add_f16_e32 v7, v7, v12
	v_add_f16_e32 v10, v11, v17
	v_fmamk_f16 v11, v14, 0x3aee, v20
	v_fmac_f16_e32 v20, 0xbaee, v14
	v_fmamk_f16 v12, v6, 0xbaee, v21
	v_fmac_f16_e32 v21, 0x3aee, v6
	v_add_co_u32 v0, vcc_lo, v0, v8
	v_pack_b32_f16 v6, v7, v10
	v_pack_b32_f16 v7, v11, v12
	v_add_co_ci_u32_e32 v1, vcc_lo, v1, v9, vcc_lo
	v_pack_b32_f16 v8, v20, v21
	global_store_dword v[4:5], v6, off
	global_store_dword v[2:3], v7, off
	;; [unrolled: 1-line block ×3, first 2 shown]
.LBB0_18:
	s_endpgm
	.section	.rodata,"a",@progbits
	.p2align	6, 0x0
	.amdhsa_kernel fft_rtc_fwd_len1560_factors_13_2_2_10_3_wgs_156_tpt_156_half_ip_CI_sbrr_dirReg
		.amdhsa_group_segment_fixed_size 0
		.amdhsa_private_segment_fixed_size 0
		.amdhsa_kernarg_size 88
		.amdhsa_user_sgpr_count 6
		.amdhsa_user_sgpr_private_segment_buffer 1
		.amdhsa_user_sgpr_dispatch_ptr 0
		.amdhsa_user_sgpr_queue_ptr 0
		.amdhsa_user_sgpr_kernarg_segment_ptr 1
		.amdhsa_user_sgpr_dispatch_id 0
		.amdhsa_user_sgpr_flat_scratch_init 0
		.amdhsa_user_sgpr_private_segment_size 0
		.amdhsa_wavefront_size32 1
		.amdhsa_uses_dynamic_stack 0
		.amdhsa_system_sgpr_private_segment_wavefront_offset 0
		.amdhsa_system_sgpr_workgroup_id_x 1
		.amdhsa_system_sgpr_workgroup_id_y 0
		.amdhsa_system_sgpr_workgroup_id_z 0
		.amdhsa_system_sgpr_workgroup_info 0
		.amdhsa_system_vgpr_workitem_id 0
		.amdhsa_next_free_vgpr 123
		.amdhsa_next_free_sgpr 23
		.amdhsa_reserve_vcc 1
		.amdhsa_reserve_flat_scratch 0
		.amdhsa_float_round_mode_32 0
		.amdhsa_float_round_mode_16_64 0
		.amdhsa_float_denorm_mode_32 3
		.amdhsa_float_denorm_mode_16_64 3
		.amdhsa_dx10_clamp 1
		.amdhsa_ieee_mode 1
		.amdhsa_fp16_overflow 0
		.amdhsa_workgroup_processor_mode 1
		.amdhsa_memory_ordered 1
		.amdhsa_forward_progress 0
		.amdhsa_shared_vgpr_count 0
		.amdhsa_exception_fp_ieee_invalid_op 0
		.amdhsa_exception_fp_denorm_src 0
		.amdhsa_exception_fp_ieee_div_zero 0
		.amdhsa_exception_fp_ieee_overflow 0
		.amdhsa_exception_fp_ieee_underflow 0
		.amdhsa_exception_fp_ieee_inexact 0
		.amdhsa_exception_int_div_zero 0
	.end_amdhsa_kernel
	.text
.Lfunc_end0:
	.size	fft_rtc_fwd_len1560_factors_13_2_2_10_3_wgs_156_tpt_156_half_ip_CI_sbrr_dirReg, .Lfunc_end0-fft_rtc_fwd_len1560_factors_13_2_2_10_3_wgs_156_tpt_156_half_ip_CI_sbrr_dirReg
                                        ; -- End function
	.section	.AMDGPU.csdata,"",@progbits
; Kernel info:
; codeLenInByte = 9744
; NumSgprs: 25
; NumVgprs: 123
; ScratchSize: 0
; MemoryBound: 0
; FloatMode: 240
; IeeeMode: 1
; LDSByteSize: 0 bytes/workgroup (compile time only)
; SGPRBlocks: 3
; VGPRBlocks: 15
; NumSGPRsForWavesPerEU: 25
; NumVGPRsForWavesPerEU: 123
; Occupancy: 8
; WaveLimiterHint : 1
; COMPUTE_PGM_RSRC2:SCRATCH_EN: 0
; COMPUTE_PGM_RSRC2:USER_SGPR: 6
; COMPUTE_PGM_RSRC2:TRAP_HANDLER: 0
; COMPUTE_PGM_RSRC2:TGID_X_EN: 1
; COMPUTE_PGM_RSRC2:TGID_Y_EN: 0
; COMPUTE_PGM_RSRC2:TGID_Z_EN: 0
; COMPUTE_PGM_RSRC2:TIDIG_COMP_CNT: 0
	.text
	.p2alignl 6, 3214868480
	.fill 48, 4, 3214868480
	.type	__hip_cuid_be9e8d4959813ac2,@object ; @__hip_cuid_be9e8d4959813ac2
	.section	.bss,"aw",@nobits
	.globl	__hip_cuid_be9e8d4959813ac2
__hip_cuid_be9e8d4959813ac2:
	.byte	0                               ; 0x0
	.size	__hip_cuid_be9e8d4959813ac2, 1

	.ident	"AMD clang version 19.0.0git (https://github.com/RadeonOpenCompute/llvm-project roc-6.4.0 25133 c7fe45cf4b819c5991fe208aaa96edf142730f1d)"
	.section	".note.GNU-stack","",@progbits
	.addrsig
	.addrsig_sym __hip_cuid_be9e8d4959813ac2
	.amdgpu_metadata
---
amdhsa.kernels:
  - .args:
      - .actual_access:  read_only
        .address_space:  global
        .offset:         0
        .size:           8
        .value_kind:     global_buffer
      - .offset:         8
        .size:           8
        .value_kind:     by_value
      - .actual_access:  read_only
        .address_space:  global
        .offset:         16
        .size:           8
        .value_kind:     global_buffer
      - .actual_access:  read_only
        .address_space:  global
        .offset:         24
        .size:           8
        .value_kind:     global_buffer
      - .offset:         32
        .size:           8
        .value_kind:     by_value
      - .actual_access:  read_only
        .address_space:  global
        .offset:         40
        .size:           8
        .value_kind:     global_buffer
      - .actual_access:  read_only
        .address_space:  global
        .offset:         48
        .size:           8
        .value_kind:     global_buffer
      - .offset:         56
        .size:           4
        .value_kind:     by_value
      - .actual_access:  read_only
        .address_space:  global
        .offset:         64
        .size:           8
        .value_kind:     global_buffer
      - .actual_access:  read_only
        .address_space:  global
        .offset:         72
        .size:           8
        .value_kind:     global_buffer
      - .address_space:  global
        .offset:         80
        .size:           8
        .value_kind:     global_buffer
    .group_segment_fixed_size: 0
    .kernarg_segment_align: 8
    .kernarg_segment_size: 88
    .language:       OpenCL C
    .language_version:
      - 2
      - 0
    .max_flat_workgroup_size: 156
    .name:           fft_rtc_fwd_len1560_factors_13_2_2_10_3_wgs_156_tpt_156_half_ip_CI_sbrr_dirReg
    .private_segment_fixed_size: 0
    .sgpr_count:     25
    .sgpr_spill_count: 0
    .symbol:         fft_rtc_fwd_len1560_factors_13_2_2_10_3_wgs_156_tpt_156_half_ip_CI_sbrr_dirReg.kd
    .uniform_work_group_size: 1
    .uses_dynamic_stack: false
    .vgpr_count:     123
    .vgpr_spill_count: 0
    .wavefront_size: 32
    .workgroup_processor_mode: 1
amdhsa.target:   amdgcn-amd-amdhsa--gfx1030
amdhsa.version:
  - 1
  - 2
...

	.end_amdgpu_metadata
